;; amdgpu-corpus repo=zjin-lcf/HeCBench kind=compiled arch=gfx906 opt=O3
	.amdgcn_target "amdgcn-amd-amdhsa--gfx906"
	.amdhsa_code_object_version 6
	.text
	.protected	_Z9initTablePyy         ; -- Begin function _Z9initTablePyy
	.globl	_Z9initTablePyy
	.p2align	8
	.type	_Z9initTablePyy,@function
_Z9initTablePyy:                        ; @_Z9initTablePyy
; %bb.0:
	s_load_dword s7, s[4:5], 0x1c
	s_load_dwordx4 s[0:3], s[4:5], 0x0
	s_waitcnt lgkmcnt(0)
	s_and_b32 s4, s7, 0xffff
	s_mul_i32 s6, s6, s4
	v_add_u32_e32 v0, s6, v0
	v_ashrrev_i32_e32 v1, 31, v0
	v_cmp_gt_u64_e32 vcc, s[2:3], v[0:1]
	s_and_saveexec_b64 s[2:3], vcc
	s_cbranch_execz .LBB0_2
; %bb.1:
	v_lshlrev_b64 v[2:3], 3, v[0:1]
	v_mov_b32_e32 v4, s1
	v_add_co_u32_e32 v2, vcc, s0, v2
	v_addc_co_u32_e32 v3, vcc, v4, v3, vcc
	global_store_dwordx2 v[2:3], v[0:1], off
.LBB0_2:
	s_endpgm
	.section	.rodata,"a",@progbits
	.p2align	6, 0x0
	.amdhsa_kernel _Z9initTablePyy
		.amdhsa_group_segment_fixed_size 0
		.amdhsa_private_segment_fixed_size 0
		.amdhsa_kernarg_size 272
		.amdhsa_user_sgpr_count 6
		.amdhsa_user_sgpr_private_segment_buffer 1
		.amdhsa_user_sgpr_dispatch_ptr 0
		.amdhsa_user_sgpr_queue_ptr 0
		.amdhsa_user_sgpr_kernarg_segment_ptr 1
		.amdhsa_user_sgpr_dispatch_id 0
		.amdhsa_user_sgpr_flat_scratch_init 0
		.amdhsa_user_sgpr_private_segment_size 0
		.amdhsa_uses_dynamic_stack 0
		.amdhsa_system_sgpr_private_segment_wavefront_offset 0
		.amdhsa_system_sgpr_workgroup_id_x 1
		.amdhsa_system_sgpr_workgroup_id_y 0
		.amdhsa_system_sgpr_workgroup_id_z 0
		.amdhsa_system_sgpr_workgroup_info 0
		.amdhsa_system_vgpr_workitem_id 0
		.amdhsa_next_free_vgpr 5
		.amdhsa_next_free_sgpr 8
		.amdhsa_reserve_vcc 1
		.amdhsa_reserve_flat_scratch 0
		.amdhsa_float_round_mode_32 0
		.amdhsa_float_round_mode_16_64 0
		.amdhsa_float_denorm_mode_32 3
		.amdhsa_float_denorm_mode_16_64 3
		.amdhsa_dx10_clamp 1
		.amdhsa_ieee_mode 1
		.amdhsa_fp16_overflow 0
		.amdhsa_exception_fp_ieee_invalid_op 0
		.amdhsa_exception_fp_denorm_src 0
		.amdhsa_exception_fp_ieee_div_zero 0
		.amdhsa_exception_fp_ieee_overflow 0
		.amdhsa_exception_fp_ieee_underflow 0
		.amdhsa_exception_fp_ieee_inexact 0
		.amdhsa_exception_int_div_zero 0
	.end_amdhsa_kernel
	.text
.Lfunc_end0:
	.size	_Z9initTablePyy, .Lfunc_end0-_Z9initTablePyy
                                        ; -- End function
	.set _Z9initTablePyy.num_vgpr, 5
	.set _Z9initTablePyy.num_agpr, 0
	.set _Z9initTablePyy.numbered_sgpr, 8
	.set _Z9initTablePyy.num_named_barrier, 0
	.set _Z9initTablePyy.private_seg_size, 0
	.set _Z9initTablePyy.uses_vcc, 1
	.set _Z9initTablePyy.uses_flat_scratch, 0
	.set _Z9initTablePyy.has_dyn_sized_stack, 0
	.set _Z9initTablePyy.has_recursion, 0
	.set _Z9initTablePyy.has_indirect_call, 0
	.section	.AMDGPU.csdata,"",@progbits
; Kernel info:
; codeLenInByte = 84
; TotalNumSgprs: 12
; NumVgprs: 5
; ScratchSize: 0
; MemoryBound: 0
; FloatMode: 240
; IeeeMode: 1
; LDSByteSize: 0 bytes/workgroup (compile time only)
; SGPRBlocks: 1
; VGPRBlocks: 1
; NumSGPRsForWavesPerEU: 12
; NumVGPRsForWavesPerEU: 5
; Occupancy: 10
; WaveLimiterHint : 0
; COMPUTE_PGM_RSRC2:SCRATCH_EN: 0
; COMPUTE_PGM_RSRC2:USER_SGPR: 6
; COMPUTE_PGM_RSRC2:TRAP_HANDLER: 0
; COMPUTE_PGM_RSRC2:TGID_X_EN: 1
; COMPUTE_PGM_RSRC2:TGID_Y_EN: 0
; COMPUTE_PGM_RSRC2:TGID_Z_EN: 0
; COMPUTE_PGM_RSRC2:TIDIG_COMP_CNT: 0
	.text
	.protected	_Z6updatePyy            ; -- Begin function _Z6updatePyy
	.globl	_Z6updatePyy
	.p2align	8
	.type	_Z6updatePyy,@function
_Z6updatePyy:                           ; @_Z6updatePyy
; %bb.0:
	s_load_dwordx4 s[12:15], s[4:5], 0x0
	s_brev_b32 s2, 14
	s_mov_b32 s3, 0x49249249
	s_mov_b32 s4, 0x12492492
	s_mov_b64 s[26:27], 0
	s_waitcnt lgkmcnt(0)
	s_lshr_b64 s[10:11], s[14:15], 5
	v_mad_u64_u32 v[1:2], s[0:1], s10, v0, 0
	s_and_b32 s11, s11, 0x1ffffff
	v_mad_u64_u32 v[3:4], s[0:1], s11, v0, v[2:3]
	v_mov_b32_e32 v2, v3
	v_cmp_lt_i64_e32 vcc, 0, v[1:2]
	v_ashrrev_i32_e32 v0, 31, v3
	v_sub_co_u32_e64 v5, s[0:1], v0, v1
	v_cndmask_b32_e32 v6, 0, v1, vcc
	v_cndmask_b32_e32 v4, 0, v3, vcc
	v_subb_co_u32_e64 v0, s[0:1], v0, v3, s[0:1]
	v_add_co_u32_e32 v6, vcc, v5, v6
	v_addc_co_u32_e32 v4, vcc, v0, v4, vcc
	v_mov_b32_e32 v5, 0
	v_mad_u64_u32 v[6:7], s[0:1], v6, s2, v[4:5]
	v_lshrrev_b32_e32 v0, 31, v3
	v_mov_b32_e32 v6, v7
	v_mov_b32_e32 v7, v5
	v_mad_u64_u32 v[6:7], s[0:1], v4, s2, v[6:7]
	v_mov_b32_e32 v4, 0xedb6db6d
	v_lshrrev_b32_e32 v3, 27, v7
	v_add_u32_e32 v3, v3, v0
	v_mad_u64_u32 v[0:1], s[0:1], v3, s3, v[1:2]
	v_mad_u64_u32 v[2:3], s[0:1], v3, s4, v[1:2]
	s_mov_b32 s0, 0xb6db6db7
	v_add_co_u32_e32 v3, vcc, s0, v0
	v_mov_b32_e32 v1, v2
	v_addc_co_u32_e32 v4, vcc, v2, v4, vcc
	v_cmp_gt_u64_e32 vcc, v[3:4], v[0:1]
	s_mov_b32 s0, 0x49249248
	v_cndmask_b32_e64 v3, v3, 0, vcc
	v_cndmask_b32_e64 v1, v4, 0, vcc
	v_mov_b32_e32 v4, 0x12492492
	v_add_co_u32_e32 v3, vcc, s0, v3
	v_addc_co_u32_e32 v4, vcc, v1, v4, vcc
	v_mad_u64_u32 v[6:7], s[0:1], v3, s2, v[4:5]
	v_mov_b32_e32 v6, v7
	v_mov_b32_e32 v7, v5
	v_mad_u64_u32 v[5:6], s[0:1], v4, s2, v[6:7]
	v_lshrrev_b32_e32 v7, 27, v6
	v_mad_u64_u32 v[5:6], s[0:1], v7, s3, 0
	v_mov_b32_e32 v1, v6
	v_mad_u64_u32 v[6:7], s[0:1], v7, s4, v[1:2]
	v_sub_co_u32_e32 v1, vcc, v3, v5
	v_subb_co_u32_e32 v5, vcc, v4, v6, vcc
	v_sub_co_u32_e32 v1, vcc, v1, v3
	v_subb_co_u32_e32 v3, vcc, v5, v4, vcc
	v_add_co_u32_e32 v0, vcc, v1, v0
	v_addc_co_u32_e32 v1, vcc, v3, v2, vcc
	v_cmp_ne_u64_e32 vcc, 0, v[0:1]
	v_mov_b32_e32 v2, 1
	v_mov_b32_e32 v3, 0
	s_and_saveexec_b64 s[16:17], vcc
	s_cbranch_execz .LBB1_16
; %bb.1:
	v_mov_b32_e32 v2, v0
	v_mov_b32_e32 v3, v1
	v_mov_b32_e32 v4, v0
	v_mov_b32_e32 v5, v1
	v_mov_b32_e32 v6, v0
	v_mov_b32_e32 v7, v1
	s_mov_b32 s30, 59
	s_mov_b32 s31, 60
	s_mov_b32 s33, 61
	s_mov_b32 s34, 62
	s_mov_b32 s35, -4
                                        ; implicit-def: $sgpr28_sgpr29
                                        ; implicit-def: $sgpr18_sgpr19
                                        ; implicit-def: $sgpr20_sgpr21
                                        ; implicit-def: $sgpr22_sgpr23
                                        ; implicit-def: $sgpr24_sgpr25
.LBB1_2:                                ; =>This Inner Loop Header: Depth=1
	s_lshl_b64 s[4:5], 1, s33
	s_lshl_b64 s[0:1], 1, s31
	s_lshl_b64 s[2:3], 1, s30
	s_lshl_b64 s[6:7], 1, s34
	v_and_b32_e32 v11, s5, v3
	v_and_b32_e32 v10, s4, v2
	;; [unrolled: 1-line block ×8, first 2 shown]
	v_cmp_ne_u64_e64 s[2:3], 0, v[10:11]
	v_cmp_ne_u64_e32 vcc, 0, v[14:15]
	v_cmp_ne_u64_e64 s[0:1], 0, v[12:13]
	v_cmp_ne_u64_e64 s[4:5], 0, v[8:9]
	v_cndmask_b32_e64 v10, 0, 1, s[2:3]
	v_cndmask_b32_e64 v14, 0, 1, vcc
	v_cndmask_b32_e64 v12, 0, 1, s[0:1]
	v_cndmask_b32_e64 v9, 0, 1, s[4:5]
	v_lshlrev_b16_e32 v10, 1, v10
	v_lshlrev_b16_e32 v11, 2, v14
	;; [unrolled: 1-line block ×3, first 2 shown]
	v_or_b32_e32 v9, v9, v10
	v_or_b32_e32 v11, v12, v11
	v_and_b32_e32 v9, 3, v9
	v_or_b32_e32 v9, v9, v11
	s_cmp_eq_u32 s35, 52
	v_and_b32_e32 v9, 15, v9
	s_cselect_b64 s[36:37], -1, 0
	v_cmp_ne_u16_e64 s[8:9], 0, v9
	s_add_i32 s34, s34, -4
	s_add_i32 s33, s33, -4
	;; [unrolled: 1-line block ×4, first 2 shown]
	s_add_i32 s35, s35, 4
	s_or_b64 s[8:9], s[8:9], s[36:37]
	s_and_b64 s[8:9], exec, s[8:9]
	v_cmp_eq_u16_e64 s[6:7], 0, v9
	s_or_b64 s[26:27], s[8:9], s[26:27]
	s_andn2_b64 s[8:9], s[24:25], exec
	s_and_b64 s[4:5], s[4:5], exec
	s_andn2_b64 s[22:23], s[22:23], exec
	s_and_b64 s[2:3], s[2:3], exec
	s_andn2_b64 s[20:21], s[20:21], exec
	s_and_b64 s[36:37], vcc, exec
	s_andn2_b64 s[18:19], s[18:19], exec
	s_and_b64 s[0:1], s[0:1], exec
	s_andn2_b64 s[28:29], s[28:29], exec
	s_and_b64 s[6:7], s[6:7], exec
	v_mov_b32_e32 v8, s35
	s_or_b64 s[24:25], s[8:9], s[4:5]
	s_or_b64 s[22:23], s[22:23], s[2:3]
	s_or_b64 s[20:21], s[20:21], s[36:37]
	s_or_b64 s[18:19], s[18:19], s[0:1]
	s_or_b64 s[28:29], s[28:29], s[6:7]
	s_andn2_b64 exec, exec, s[26:27]
	s_cbranch_execnz .LBB1_2
; %bb.3:
	s_or_b64 exec, exec, s[26:27]
                                        ; implicit-def: $vgpr4
	s_and_saveexec_b64 s[0:1], s[28:29]
	s_xor_b64 s[0:1], exec, s[0:1]
	s_cbranch_execz .LBB1_9
; %bb.4:
	v_and_b32_e32 v2, 4, v0
	v_mov_b32_e32 v3, 0
	v_cmp_eq_u64_e32 vcc, 0, v[2:3]
	v_mov_b32_e32 v4, 2
	s_and_saveexec_b64 s[2:3], vcc
	s_cbranch_execz .LBB1_8
; %bb.5:
	v_and_b32_e32 v2, 2, v0
	v_cmp_eq_u64_e32 vcc, 0, v[2:3]
	v_mov_b32_e32 v4, 1
	s_and_saveexec_b64 s[4:5], vcc
; %bb.6:
	v_and_b32_e32 v2, 1, v0
	v_mov_b32_e32 v3, 0
	v_cmp_eq_u64_e32 vcc, 0, v[2:3]
	v_cndmask_b32_e64 v4, 0, -1, vcc
; %bb.7:
	s_or_b64 exec, exec, s[4:5]
.LBB1_8:
	s_or_b64 exec, exec, s[2:3]
.LBB1_9:
	s_andn2_saveexec_b64 s[0:1], s[0:1]
	s_cbranch_execz .LBB1_11
; %bb.10:
	v_cndmask_b32_e64 v4, 0, -1, s[22:23]
	v_cndmask_b32_e64 v2, 0, -1, s[24:25]
	;; [unrolled: 1-line block ×3, first 2 shown]
	v_and_b32_e32 v4, 3, v4
	v_cndmask_b32_e64 v5, 0, 1, s[18:19]
	v_and_b32_e32 v2, 4, v2
	v_and_b32_e32 v3, 2, v3
	v_max_u16_e32 v4, v4, v5
	v_max3_u16 v2, v2, v3, v4
	v_sub_u16_e32 v2, 4, v2
	v_add_u32_sdwa v2, v8, v2 dst_sel:DWORD dst_unused:UNUSED_PAD src0_sel:DWORD src1_sel:BYTE_0
	v_sub_u32_e32 v4, 62, v2
.LBB1_11:
	s_or_b64 exec, exec, s[0:1]
	v_mov_b32_e32 v2, 2
	v_mov_b32_e32 v3, 0
	v_cmp_lt_i32_e32 vcc, 0, v4
	s_and_saveexec_b64 s[0:1], vcc
	s_cbranch_execz .LBB1_15
; %bb.12:
	v_add_u32_e32 v6, 1, v4
	v_add_u32_e32 v7, -1, v4
	v_mov_b32_e32 v4, 0
	v_mov_b32_e32 v2, 2
	;; [unrolled: 1-line block ×4, first 2 shown]
	s_mov_b64 s[2:3], 0
.LBB1_13:                               ; =>This Inner Loop Header: Depth=1
	v_lshlrev_b32_e32 v5, 1, v2
	v_and_b32_e32 v5, 4, v5
	v_lshlrev_b32_e32 v9, 2, v2
	v_lshlrev_b32_e32 v10, 3, v2
	v_and_or_b32 v5, v2, 1, v5
	v_and_b32_e32 v9, 16, v9
	v_and_b32_e32 v10, 64, v10
	v_or3_b32 v5, v5, v9, v10
	v_lshlrev_b32_e32 v9, 4, v2
	v_lshlrev_b32_e32 v10, 5, v2
	v_and_b32_e32 v9, 0x100, v9
	v_and_b32_e32 v10, 0x400, v10
	v_or3_b32 v5, v5, v9, v10
	v_lshlrev_b32_e32 v9, 6, v2
	v_and_b32_e32 v13, 0x1000, v9
	v_lshlrev_b32_e32 v9, 7, v2
	v_and_b32_e32 v14, 0x4000, v9
	;; [unrolled: 2-line block ×3, first 2 shown]
	v_lshlrev_b64 v[9:10], 16, v[2:3]
	v_lshlrev_b64 v[11:12], 17, v[2:3]
	v_and_b32_e32 v17, 1, v10
	v_lshlrev_b64 v[9:10], 18, v[2:3]
	v_and_b32_e32 v18, 4, v12
	;; [unrolled: 2-line block ×3, first 2 shown]
	v_lshlrev_b64 v[9:10], 20, v[2:3]
	v_lshlrev_b32_e32 v16, 9, v2
	v_and_b32_e32 v19, 0x100, v10
	v_lshlrev_b32_e32 v20, 10, v2
	v_lshlrev_b64 v[9:10], 21, v[2:3]
	v_and_b32_e32 v16, 0x40000, v16
	v_or3_b32 v13, v14, v13, v15
	v_and_b32_e32 v9, 0x100000, v20
	v_and_b32_e32 v14, 0x400, v10
	v_or3_b32 v13, v13, v16, v9
	v_lshlrev_b64 v[9:10], 22, v[2:3]
	v_lshlrev_b32_e32 v15, 11, v2
	v_and_b32_e32 v9, 0x400000, v15
	v_and_b32_e32 v15, 0x1000, v10
	v_lshlrev_b32_e32 v10, 12, v2
	v_and_b32_e32 v10, 0x1000000, v10
	v_or3_b32 v13, v13, v9, v10
	v_lshlrev_b64 v[9:10], 23, v[2:3]
	v_and_b32_e32 v12, 64, v12
	v_and_b32_e32 v16, 0x4000, v10
	v_lshlrev_b64 v[9:10], 24, v[2:3]
	v_add_u32_e32 v6, -1, v6
	v_and_b32_e32 v20, 0x10000, v10
	v_lshlrev_b64 v[9:10], 25, v[2:3]
	v_or_b32_e32 v9, v17, v18
	v_and_b32_e32 v21, 0x40000, v10
	v_or3_b32 v11, v9, v11, v12
	v_lshlrev_b64 v[9:10], 26, v[2:3]
	v_or3_b32 v11, v11, v19, v14
	v_and_b32_e32 v12, 0x100000, v10
	v_lshlrev_b64 v[9:10], 27, v[2:3]
	v_xor_b32_e32 v11, v11, v15
	v_and_b32_e32 v17, 0x400000, v10
	v_lshlrev_b64 v[9:10], 28, v[2:3]
	v_xor_b32_e32 v11, v11, v16
	;; [unrolled: 3-line block ×5, first 2 shown]
	v_and_b32_e32 v9, 2.0, v10
	v_lshlrev_b32_e32 v10, 13, v2
	v_and_b32_e32 v10, 0x4000000, v10
	v_xor_b32_e32 v10, v13, v10
	v_lshlrev_b32_e32 v13, 14, v2
	v_and_b32_e32 v13, 0x10000000, v13
	v_xor_b32_e32 v10, v10, v13
	v_lshlrev_b32_e32 v13, 15, v2
	v_and_b32_e32 v13, 2.0, v13
	v_xor_b32_e32 v10, v10, v13
	v_or3_b32 v10, v10, 0, 0
	v_xor_b32_e32 v11, v11, v17
	v_or3_b32 v10, v10, 0, 0
	v_xor_b32_e32 v11, v11, v14
	v_xor_b32_e32 v11, v11, v18
	;; [unrolled: 1-line block ×3, first 2 shown]
	v_and_b32_e32 v5, 1, v3
	v_xor_b32_e32 v11, v11, v19
	v_cmp_eq_u64_e32 vcc, 0, v[4:5]
	v_xor_b32_e32 v9, v11, v9
	v_xor_b32_e32 v11, 7, v10
	v_and_b32_e32 v5, 2, v3
	v_cndmask_b32_e32 v10, v11, v10, vcc
	v_cmp_eq_u64_e32 vcc, 0, v[4:5]
	v_xor_b32_e32 v11, 28, v10
	v_and_b32_e32 v5, 4, v3
	v_cndmask_b32_e32 v10, v11, v10, vcc
	v_cmp_eq_u64_e32 vcc, 0, v[4:5]
	;; [unrolled: 4-line block ×15, first 2 shown]
	v_xor_b32_e32 v11, -2.0, v10
	v_xor_b32_e32 v12, 1, v9
	v_and_b32_e32 v5, 0x10000, v3
	v_cndmask_b32_e32 v10, v11, v10, vcc
	v_cndmask_b32_e32 v9, v12, v9, vcc
	v_cmp_eq_u64_e32 vcc, 0, v[4:5]
	v_xor_b32_e32 v11, 7, v9
	v_and_b32_e32 v5, 0x20000, v3
	v_cndmask_b32_e32 v9, v11, v9, vcc
	v_cmp_eq_u64_e32 vcc, 0, v[4:5]
	v_xor_b32_e32 v11, 28, v9
	v_and_b32_e32 v5, 0x40000, v3
	;; [unrolled: 4-line block ×13, first 2 shown]
	v_cndmask_b32_e32 v9, v11, v9, vcc
	v_cmp_eq_u64_e32 vcc, 0, v[4:5]
	v_xor_b32_e32 v11, 0x1c000000, v9
	v_and_b32_e32 v5, 2.0, v3
	v_cndmask_b32_e32 v9, v11, v9, vcc
	v_cmp_eq_u64_e32 vcc, 0, v[4:5]
	v_xor_b32_e32 v11, 0x70000000, v9
	v_cndmask_b32_e32 v5, v11, v9, vcc
	v_cmp_gt_i64_e32 vcc, 0, v[2:3]
	v_xor_b32_e32 v9, 7, v10
	v_xor_b32_e32 v11, -2.0, v5
	v_cndmask_b32_e32 v2, v10, v9, vcc
	v_lshrrev_b64 v[9:10], v7, v[0:1]
	v_cndmask_b32_e32 v3, v5, v11, vcc
	v_and_b32_e32 v9, 1, v9
	v_mov_b32_e32 v10, v4
	v_lshlrev_b64 v[11:12], 1, v[2:3]
	v_ashrrev_i32_e32 v5, 31, v3
	v_and_b32_e32 v5, 7, v5
	v_cmp_eq_u64_e32 vcc, 0, v[9:10]
	v_xor_b32_e32 v5, v5, v11
	v_cndmask_b32_e32 v3, v12, v3, vcc
	v_cndmask_b32_e32 v2, v5, v2, vcc
	v_cmp_gt_u32_e32 vcc, 2, v6
	s_or_b64 s[2:3], vcc, s[2:3]
	v_add_co_u32_e32 v7, vcc, -1, v7
	v_addc_co_u32_e32 v8, vcc, -1, v8, vcc
	s_andn2_b64 exec, exec, s[2:3]
	s_cbranch_execnz .LBB1_13
; %bb.14:
	s_or_b64 exec, exec, s[2:3]
.LBB1_15:
	s_or_b64 exec, exec, s[0:1]
.LBB1_16:
	s_or_b64 exec, exec, s[16:17]
	s_cmp_eq_u64 s[10:11], 0
	s_cbranch_scc1 .LBB1_19
; %bb.17:
	s_add_u32 s0, s14, -1
	s_addc_u32 s1, s15, -1
	v_mov_b32_e32 v0, s13
.LBB1_18:                               ; =>This Inner Loop Header: Depth=1
	v_lshlrev_b64 v[1:2], 1, v[2:3]
	v_ashrrev_i32_e32 v3, 31, v3
	v_and_b32_e32 v3, 7, v3
	v_xor_b32_e32 v1, v3, v1
	v_and_b32_e32 v4, s1, v2
	v_and_b32_e32 v3, s0, v1
	v_lshlrev_b64 v[3:4], 3, v[3:4]
	s_add_u32 s10, s10, -1
	v_add_co_u32_e32 v3, vcc, s12, v3
	v_addc_co_u32_e32 v4, vcc, v0, v4, vcc
	global_atomic_xor_x2 v[3:4], v[1:2], off
	s_addc_u32 s11, s11, -1
	v_mov_b32_e32 v3, v2
	s_cmp_eq_u64 s[10:11], 0
	v_mov_b32_e32 v2, v1
	s_cbranch_scc0 .LBB1_18
.LBB1_19:
	s_endpgm
	.section	.rodata,"a",@progbits
	.p2align	6, 0x0
	.amdhsa_kernel _Z6updatePyy
		.amdhsa_group_segment_fixed_size 0
		.amdhsa_private_segment_fixed_size 0
		.amdhsa_kernarg_size 16
		.amdhsa_user_sgpr_count 6
		.amdhsa_user_sgpr_private_segment_buffer 1
		.amdhsa_user_sgpr_dispatch_ptr 0
		.amdhsa_user_sgpr_queue_ptr 0
		.amdhsa_user_sgpr_kernarg_segment_ptr 1
		.amdhsa_user_sgpr_dispatch_id 0
		.amdhsa_user_sgpr_flat_scratch_init 0
		.amdhsa_user_sgpr_private_segment_size 0
		.amdhsa_uses_dynamic_stack 0
		.amdhsa_system_sgpr_private_segment_wavefront_offset 0
		.amdhsa_system_sgpr_workgroup_id_x 1
		.amdhsa_system_sgpr_workgroup_id_y 0
		.amdhsa_system_sgpr_workgroup_id_z 0
		.amdhsa_system_sgpr_workgroup_info 0
		.amdhsa_system_vgpr_workitem_id 0
		.amdhsa_next_free_vgpr 22
		.amdhsa_next_free_sgpr 38
		.amdhsa_reserve_vcc 1
		.amdhsa_reserve_flat_scratch 0
		.amdhsa_float_round_mode_32 0
		.amdhsa_float_round_mode_16_64 0
		.amdhsa_float_denorm_mode_32 3
		.amdhsa_float_denorm_mode_16_64 3
		.amdhsa_dx10_clamp 1
		.amdhsa_ieee_mode 1
		.amdhsa_fp16_overflow 0
		.amdhsa_exception_fp_ieee_invalid_op 0
		.amdhsa_exception_fp_denorm_src 0
		.amdhsa_exception_fp_ieee_div_zero 0
		.amdhsa_exception_fp_ieee_overflow 0
		.amdhsa_exception_fp_ieee_underflow 0
		.amdhsa_exception_fp_ieee_inexact 0
		.amdhsa_exception_int_div_zero 0
	.end_amdhsa_kernel
	.text
.Lfunc_end1:
	.size	_Z6updatePyy, .Lfunc_end1-_Z6updatePyy
                                        ; -- End function
	.set _Z6updatePyy.num_vgpr, 22
	.set _Z6updatePyy.num_agpr, 0
	.set _Z6updatePyy.numbered_sgpr, 38
	.set _Z6updatePyy.num_named_barrier, 0
	.set _Z6updatePyy.private_seg_size, 0
	.set _Z6updatePyy.uses_vcc, 1
	.set _Z6updatePyy.uses_flat_scratch, 0
	.set _Z6updatePyy.has_dyn_sized_stack, 0
	.set _Z6updatePyy.has_recursion, 0
	.set _Z6updatePyy.has_indirect_call, 0
	.section	.AMDGPU.csdata,"",@progbits
; Kernel info:
; codeLenInByte = 2304
; TotalNumSgprs: 42
; NumVgprs: 22
; ScratchSize: 0
; MemoryBound: 0
; FloatMode: 240
; IeeeMode: 1
; LDSByteSize: 0 bytes/workgroup (compile time only)
; SGPRBlocks: 5
; VGPRBlocks: 5
; NumSGPRsForWavesPerEU: 42
; NumVGPRsForWavesPerEU: 22
; Occupancy: 10
; WaveLimiterHint : 0
; COMPUTE_PGM_RSRC2:SCRATCH_EN: 0
; COMPUTE_PGM_RSRC2:USER_SGPR: 6
; COMPUTE_PGM_RSRC2:TRAP_HANDLER: 0
; COMPUTE_PGM_RSRC2:TGID_X_EN: 1
; COMPUTE_PGM_RSRC2:TGID_Y_EN: 0
; COMPUTE_PGM_RSRC2:TGID_Z_EN: 0
; COMPUTE_PGM_RSRC2:TIDIG_COMP_CNT: 0
	.section	.AMDGPU.gpr_maximums,"",@progbits
	.set amdgpu.max_num_vgpr, 0
	.set amdgpu.max_num_agpr, 0
	.set amdgpu.max_num_sgpr, 0
	.section	.AMDGPU.csdata,"",@progbits
	.type	__hip_cuid_b89fade714874da0,@object ; @__hip_cuid_b89fade714874da0
	.section	.bss,"aw",@nobits
	.globl	__hip_cuid_b89fade714874da0
__hip_cuid_b89fade714874da0:
	.byte	0                               ; 0x0
	.size	__hip_cuid_b89fade714874da0, 1

	.ident	"AMD clang version 22.0.0git (https://github.com/RadeonOpenCompute/llvm-project roc-7.2.4 26084 f58b06dce1f9c15707c5f808fd002e18c2accf7e)"
	.section	".note.GNU-stack","",@progbits
	.addrsig
	.addrsig_sym __hip_cuid_b89fade714874da0
	.amdgpu_metadata
---
amdhsa.kernels:
  - .args:
      - .address_space:  global
        .offset:         0
        .size:           8
        .value_kind:     global_buffer
      - .offset:         8
        .size:           8
        .value_kind:     by_value
      - .offset:         16
        .size:           4
        .value_kind:     hidden_block_count_x
      - .offset:         20
        .size:           4
        .value_kind:     hidden_block_count_y
      - .offset:         24
        .size:           4
        .value_kind:     hidden_block_count_z
      - .offset:         28
        .size:           2
        .value_kind:     hidden_group_size_x
      - .offset:         30
        .size:           2
        .value_kind:     hidden_group_size_y
      - .offset:         32
        .size:           2
        .value_kind:     hidden_group_size_z
      - .offset:         34
        .size:           2
        .value_kind:     hidden_remainder_x
      - .offset:         36
        .size:           2
        .value_kind:     hidden_remainder_y
      - .offset:         38
        .size:           2
        .value_kind:     hidden_remainder_z
      - .offset:         56
        .size:           8
        .value_kind:     hidden_global_offset_x
      - .offset:         64
        .size:           8
        .value_kind:     hidden_global_offset_y
      - .offset:         72
        .size:           8
        .value_kind:     hidden_global_offset_z
      - .offset:         80
        .size:           2
        .value_kind:     hidden_grid_dims
    .group_segment_fixed_size: 0
    .kernarg_segment_align: 8
    .kernarg_segment_size: 272
    .language:       OpenCL C
    .language_version:
      - 2
      - 0
    .max_flat_workgroup_size: 1024
    .name:           _Z9initTablePyy
    .private_segment_fixed_size: 0
    .sgpr_count:     12
    .sgpr_spill_count: 0
    .symbol:         _Z9initTablePyy.kd
    .uniform_work_group_size: 1
    .uses_dynamic_stack: false
    .vgpr_count:     5
    .vgpr_spill_count: 0
    .wavefront_size: 64
  - .args:
      - .address_space:  global
        .offset:         0
        .size:           8
        .value_kind:     global_buffer
      - .offset:         8
        .size:           8
        .value_kind:     by_value
    .group_segment_fixed_size: 0
    .kernarg_segment_align: 8
    .kernarg_segment_size: 16
    .language:       OpenCL C
    .language_version:
      - 2
      - 0
    .max_flat_workgroup_size: 1024
    .name:           _Z6updatePyy
    .private_segment_fixed_size: 0
    .sgpr_count:     42
    .sgpr_spill_count: 0
    .symbol:         _Z6updatePyy.kd
    .uniform_work_group_size: 1
    .uses_dynamic_stack: false
    .vgpr_count:     22
    .vgpr_spill_count: 0
    .wavefront_size: 64
amdhsa.target:   amdgcn-amd-amdhsa--gfx906
amdhsa.version:
  - 1
  - 2
...

	.end_amdgpu_metadata
